;; amdgpu-corpus repo=ROCm/rocFFT kind=compiled arch=gfx950 opt=O3
	.text
	.amdgcn_target "amdgcn-amd-amdhsa--gfx950"
	.amdhsa_code_object_version 6
	.protected	fft_rtc_fwd_len216_factors_6_6_6_wgs_324_tpt_36_dp_ip_CI_sbcc_twdbase8_2step ; -- Begin function fft_rtc_fwd_len216_factors_6_6_6_wgs_324_tpt_36_dp_ip_CI_sbcc_twdbase8_2step
	.globl	fft_rtc_fwd_len216_factors_6_6_6_wgs_324_tpt_36_dp_ip_CI_sbcc_twdbase8_2step
	.p2align	8
	.type	fft_rtc_fwd_len216_factors_6_6_6_wgs_324_tpt_36_dp_ip_CI_sbcc_twdbase8_2step,@function
fft_rtc_fwd_len216_factors_6_6_6_wgs_324_tpt_36_dp_ip_CI_sbcc_twdbase8_2step: ; @fft_rtc_fwd_len216_factors_6_6_6_wgs_324_tpt_36_dp_ip_CI_sbcc_twdbase8_2step
; %bb.0:
	s_load_dwordx4 s[12:15], s[0:1], 0x18
	s_mov_b32 s3, 0
	s_mov_b64 s[26:27], 0
	s_waitcnt lgkmcnt(0)
	s_load_dwordx2 s[20:21], s[12:13], 0x8
	s_waitcnt lgkmcnt(0)
	s_add_u32 s4, s20, -1
	s_addc_u32 s5, s21, -1
	s_add_u32 s6, 0, 0x71c4fc00
	s_addc_u32 s7, 0, 0x7c
	s_mul_hi_u32 s9, s6, -9
	s_add_i32 s7, s7, 0x1c71c6a0
	s_sub_i32 s9, s9, s6
	s_mul_i32 s16, s7, -9
	s_mul_i32 s8, s6, -9
	s_add_i32 s9, s9, s16
	s_mul_hi_u32 s10, s7, s8
	s_mul_i32 s11, s7, s8
	s_mul_i32 s17, s6, s9
	s_mul_hi_u32 s8, s6, s8
	s_mul_hi_u32 s16, s6, s9
	s_add_u32 s8, s8, s17
	s_addc_u32 s16, 0, s16
	s_add_u32 s8, s8, s11
	s_mul_hi_u32 s17, s7, s9
	s_addc_u32 s8, s16, s10
	s_addc_u32 s10, s17, 0
	s_mul_i32 s9, s7, s9
	s_add_u32 s8, s8, s9
	v_mov_b32_e32 v1, s8
	s_addc_u32 s9, 0, s10
	v_add_co_u32_e32 v1, vcc, s6, v1
	s_cmp_lg_u64 vcc, 0
	s_addc_u32 s6, s7, s9
	v_readfirstlane_b32 s9, v1
	s_mul_i32 s8, s4, s6
	s_mul_hi_u32 s10, s4, s9
	s_mul_hi_u32 s7, s4, s6
	s_add_u32 s8, s10, s8
	s_addc_u32 s7, 0, s7
	s_mul_hi_u32 s11, s5, s9
	s_mul_i32 s9, s5, s9
	s_add_u32 s8, s8, s9
	s_mul_hi_u32 s10, s5, s6
	s_addc_u32 s7, s7, s11
	s_addc_u32 s8, s10, 0
	s_mul_i32 s6, s5, s6
	s_add_u32 s6, s7, s6
	s_addc_u32 s7, 0, s8
	s_add_u32 s8, s6, 1
	s_addc_u32 s9, s7, 0
	s_add_u32 s10, s6, 2
	s_mul_i32 s16, s7, 9
	s_mul_hi_u32 s17, s6, 9
	s_addc_u32 s11, s7, 0
	s_add_i32 s17, s17, s16
	s_mul_i32 s16, s6, 9
	v_mov_b32_e32 v1, s16
	v_sub_co_u32_e32 v1, vcc, s4, v1
	s_cmp_lg_u64 vcc, 0
	s_subb_u32 s4, s5, s17
	v_subrev_co_u32_e32 v2, vcc, 9, v1
	s_cmp_lg_u64 vcc, 0
	s_subb_u32 s5, s4, 0
	v_readfirstlane_b32 s16, v2
	s_cmp_gt_u32 s16, 8
	s_cselect_b32 s16, -1, 0
	s_cmp_eq_u32 s5, 0
	s_cselect_b32 s5, s16, -1
	s_cmp_lg_u32 s5, 0
	s_cselect_b32 s5, s10, s8
	s_cselect_b32 s8, s11, s9
	v_readfirstlane_b32 s9, v1
	s_cmp_gt_u32 s9, 8
	s_cselect_b32 s9, -1, 0
	s_cmp_eq_u32 s4, 0
	s_cselect_b32 s4, s9, -1
	s_cmp_lg_u32 s4, 0
	s_cselect_b32 s5, s5, s6
	s_cselect_b32 s4, s8, s7
	s_add_u32 s24, s5, 1
	s_addc_u32 s25, s4, 0
	v_mov_b64_e32 v[2:3], s[24:25]
	v_cmp_lt_u64_e32 vcc, s[2:3], v[2:3]
	s_cbranch_vccnz .LBB0_2
; %bb.1:
	v_cvt_f32_u32_e32 v1, s24
	s_sub_i32 s4, 0, s24
	s_mov_b32 s27, s3
	v_rcp_iflag_f32_e32 v1, v1
	s_nop 0
	v_mul_f32_e32 v1, 0x4f7ffffe, v1
	v_cvt_u32_f32_e32 v1, v1
	s_nop 0
	v_readfirstlane_b32 s5, v1
	s_mul_i32 s4, s4, s5
	s_mul_hi_u32 s4, s5, s4
	s_add_i32 s5, s5, s4
	s_mul_hi_u32 s4, s2, s5
	s_mul_i32 s6, s4, s24
	s_sub_i32 s6, s2, s6
	s_add_i32 s5, s4, 1
	s_sub_i32 s7, s6, s24
	s_cmp_ge_u32 s6, s24
	s_cselect_b32 s4, s5, s4
	s_cselect_b32 s6, s7, s6
	s_add_i32 s5, s4, 1
	s_cmp_ge_u32 s6, s24
	s_cselect_b32 s26, s5, s4
.LBB0_2:
	s_load_dwordx2 s[16:17], s[0:1], 0x58
	s_load_dwordx4 s[4:7], s[14:15], 0x0
	s_load_dwordx2 s[18:19], s[0:1], 0x0
	s_load_dwordx4 s[8:11], s[0:1], 0x8
	s_mul_i32 s0, s26, s25
	s_mul_hi_u32 s1, s26, s24
	s_add_i32 s1, s1, s0
	s_mul_i32 s0, s26, s24
	s_sub_u32 s0, s2, s0
	s_subb_u32 s1, 0, s1
	s_mul_i32 s1, s1, 9
	s_mul_hi_u32 s22, s0, 9
	s_add_i32 s23, s22, s1
	s_mul_i32 s22, s0, 9
	s_waitcnt lgkmcnt(0)
	s_mul_i32 s0, s6, s23
	s_mul_hi_u32 s1, s6, s22
	s_add_i32 s0, s1, s0
	s_mul_i32 s1, s7, s22
	s_add_i32 s33, s0, s1
	v_cmp_lt_u64_e64 s[0:1], s[10:11], 3
	s_mul_i32 s40, s6, s22
	s_and_b64 vcc, exec, s[0:1]
	s_cbranch_vccnz .LBB0_12
; %bb.3:
	s_add_u32 s28, s14, 16
	s_addc_u32 s29, s15, 0
	s_add_u32 s12, s12, 16
	s_addc_u32 s13, s13, 0
	s_mov_b64 s[30:31], 2
	s_mov_b32 s34, 0
	v_mov_b64_e32 v[2:3], s[10:11]
.LBB0_4:                                ; =>This Inner Loop Header: Depth=1
	s_load_dwordx2 s[36:37], s[12:13], 0x0
	s_waitcnt lgkmcnt(0)
	s_or_b64 s[0:1], s[26:27], s[36:37]
	s_mov_b32 s35, s1
	s_cmp_lg_u64 s[34:35], 0
	s_cbranch_scc0 .LBB0_9
; %bb.5:                                ;   in Loop: Header=BB0_4 Depth=1
	v_cvt_f32_u32_e32 v1, s36
	v_cvt_f32_u32_e32 v4, s37
	s_sub_u32 s0, 0, s36
	s_subb_u32 s1, 0, s37
	v_fmac_f32_e32 v1, 0x4f800000, v4
	v_rcp_f32_e32 v1, v1
	s_nop 0
	v_mul_f32_e32 v1, 0x5f7ffffc, v1
	v_mul_f32_e32 v4, 0x2f800000, v1
	v_trunc_f32_e32 v4, v4
	v_fmac_f32_e32 v1, 0xcf800000, v4
	v_cvt_u32_f32_e32 v4, v4
	v_cvt_u32_f32_e32 v1, v1
	v_readfirstlane_b32 s35, v4
	v_readfirstlane_b32 s38, v1
	s_mul_i32 s39, s0, s35
	s_mul_hi_u32 s42, s0, s38
	s_mul_i32 s41, s1, s38
	s_add_i32 s39, s42, s39
	s_mul_i32 s43, s0, s38
	s_add_i32 s39, s39, s41
	s_mul_hi_u32 s41, s38, s39
	s_mul_i32 s42, s38, s39
	s_mul_hi_u32 s38, s38, s43
	s_add_u32 s38, s38, s42
	s_addc_u32 s41, 0, s41
	s_mul_hi_u32 s44, s35, s43
	s_mul_i32 s43, s35, s43
	s_add_u32 s38, s38, s43
	s_mul_hi_u32 s42, s35, s39
	s_addc_u32 s38, s41, s44
	s_addc_u32 s41, s42, 0
	s_mul_i32 s39, s35, s39
	s_add_u32 s38, s38, s39
	s_addc_u32 s39, 0, s41
	v_add_co_u32_e32 v1, vcc, s38, v1
	s_cmp_lg_u64 vcc, 0
	s_addc_u32 s35, s35, s39
	v_readfirstlane_b32 s39, v1
	s_mul_i32 s38, s0, s35
	s_mul_hi_u32 s41, s0, s39
	s_add_i32 s38, s41, s38
	s_mul_i32 s1, s1, s39
	s_add_i32 s38, s38, s1
	s_mul_i32 s0, s0, s39
	s_mul_hi_u32 s41, s35, s0
	s_mul_i32 s42, s35, s0
	s_mul_i32 s44, s39, s38
	s_mul_hi_u32 s0, s39, s0
	s_mul_hi_u32 s43, s39, s38
	s_add_u32 s0, s0, s44
	s_addc_u32 s39, 0, s43
	s_add_u32 s0, s0, s42
	s_mul_hi_u32 s1, s35, s38
	s_addc_u32 s0, s39, s41
	s_addc_u32 s1, s1, 0
	s_mul_i32 s38, s35, s38
	s_add_u32 s0, s0, s38
	s_addc_u32 s1, 0, s1
	v_add_co_u32_e32 v1, vcc, s0, v1
	s_cmp_lg_u64 vcc, 0
	s_addc_u32 s0, s35, s1
	v_readfirstlane_b32 s38, v1
	s_mul_i32 s35, s26, s0
	s_mul_hi_u32 s39, s26, s38
	s_mul_hi_u32 s1, s26, s0
	s_add_u32 s35, s39, s35
	s_addc_u32 s1, 0, s1
	s_mul_hi_u32 s41, s27, s38
	s_mul_i32 s38, s27, s38
	s_add_u32 s35, s35, s38
	s_mul_hi_u32 s39, s27, s0
	s_addc_u32 s1, s1, s41
	s_addc_u32 s35, s39, 0
	s_mul_i32 s0, s27, s0
	s_add_u32 s38, s1, s0
	s_addc_u32 s35, 0, s35
	s_mul_i32 s0, s36, s35
	s_mul_hi_u32 s1, s36, s38
	s_add_i32 s0, s1, s0
	s_mul_i32 s1, s37, s38
	s_add_i32 s39, s0, s1
	s_mul_i32 s1, s36, s38
	v_mov_b32_e32 v1, s1
	s_sub_i32 s0, s27, s39
	v_sub_co_u32_e32 v1, vcc, s26, v1
	s_cmp_lg_u64 vcc, 0
	s_subb_u32 s41, s0, s37
	v_subrev_co_u32_e64 v4, s[0:1], s36, v1
	s_cmp_lg_u64 s[0:1], 0
	s_subb_u32 s0, s41, 0
	s_cmp_ge_u32 s0, s37
	v_readfirstlane_b32 s41, v4
	s_cselect_b32 s1, -1, 0
	s_cmp_ge_u32 s41, s36
	s_cselect_b32 s41, -1, 0
	s_cmp_eq_u32 s0, s37
	s_cselect_b32 s0, s41, s1
	s_add_u32 s1, s38, 1
	s_addc_u32 s41, s35, 0
	s_add_u32 s42, s38, 2
	s_addc_u32 s43, s35, 0
	s_cmp_lg_u32 s0, 0
	s_cselect_b32 s0, s42, s1
	s_cselect_b32 s1, s43, s41
	s_cmp_lg_u64 vcc, 0
	s_subb_u32 s39, s27, s39
	s_cmp_ge_u32 s39, s37
	v_readfirstlane_b32 s42, v1
	s_cselect_b32 s41, -1, 0
	s_cmp_ge_u32 s42, s36
	s_cselect_b32 s42, -1, 0
	s_cmp_eq_u32 s39, s37
	s_cselect_b32 s39, s42, s41
	s_cmp_lg_u32 s39, 0
	s_cselect_b32 s1, s1, s35
	s_cselect_b32 s0, s0, s38
	s_cbranch_execnz .LBB0_7
.LBB0_6:                                ;   in Loop: Header=BB0_4 Depth=1
	v_cvt_f32_u32_e32 v1, s36
	s_sub_i32 s0, 0, s36
	v_rcp_iflag_f32_e32 v1, v1
	s_nop 0
	v_mul_f32_e32 v1, 0x4f7ffffe, v1
	v_cvt_u32_f32_e32 v1, v1
	s_nop 0
	v_readfirstlane_b32 s1, v1
	s_mul_i32 s0, s0, s1
	s_mul_hi_u32 s0, s1, s0
	s_add_i32 s1, s1, s0
	s_mul_hi_u32 s0, s26, s1
	s_mul_i32 s35, s0, s36
	s_sub_i32 s35, s26, s35
	s_add_i32 s1, s0, 1
	s_sub_i32 s38, s35, s36
	s_cmp_ge_u32 s35, s36
	s_cselect_b32 s0, s1, s0
	s_cselect_b32 s35, s38, s35
	s_add_i32 s1, s0, 1
	s_cmp_ge_u32 s35, s36
	s_cselect_b32 s0, s1, s0
	s_mov_b32 s1, s34
.LBB0_7:                                ;   in Loop: Header=BB0_4 Depth=1
	s_mul_i32 s25, s36, s25
	s_mul_hi_u32 s35, s36, s24
	s_add_i32 s25, s35, s25
	s_mul_i32 s35, s37, s24
	s_add_i32 s25, s25, s35
	s_mul_i32 s35, s0, s37
	s_mul_hi_u32 s37, s0, s36
	s_load_dwordx2 s[38:39], s[28:29], 0x0
	s_add_i32 s35, s37, s35
	s_mul_i32 s37, s1, s36
	s_mul_i32 s24, s36, s24
	s_add_i32 s35, s35, s37
	s_mul_i32 s36, s0, s36
	s_sub_u32 s26, s26, s36
	s_subb_u32 s27, s27, s35
	s_waitcnt lgkmcnt(0)
	s_mul_i32 s27, s38, s27
	s_mul_hi_u32 s35, s38, s26
	s_add_i32 s27, s35, s27
	s_mul_i32 s35, s39, s26
	s_add_i32 s27, s27, s35
	s_mul_i32 s26, s38, s26
	s_add_u32 s40, s26, s40
	s_addc_u32 s33, s27, s33
	s_add_u32 s30, s30, 1
	s_addc_u32 s31, s31, 0
	;; [unrolled: 2-line block ×3, first 2 shown]
	s_add_u32 s12, s12, 8
	v_cmp_ge_u64_e32 vcc, s[30:31], v[2:3]
	s_addc_u32 s13, s13, 0
	s_cbranch_vccnz .LBB0_10
; %bb.8:                                ;   in Loop: Header=BB0_4 Depth=1
	s_mov_b64 s[26:27], s[0:1]
	s_branch .LBB0_4
.LBB0_9:                                ;   in Loop: Header=BB0_4 Depth=1
                                        ; implicit-def: $sgpr0_sgpr1
	s_branch .LBB0_6
.LBB0_10:
	v_mov_b64_e32 v[2:3], s[24:25]
	v_cmp_lt_u64_e32 vcc, s[2:3], v[2:3]
	s_mov_b64 s[26:27], 0
	s_cbranch_vccnz .LBB0_12
; %bb.11:
	v_cvt_f32_u32_e32 v1, s24
	s_sub_i32 s0, 0, s24
	v_rcp_iflag_f32_e32 v1, v1
	s_nop 0
	v_mul_f32_e32 v1, 0x4f7ffffe, v1
	v_cvt_u32_f32_e32 v1, v1
	s_nop 0
	v_readfirstlane_b32 s1, v1
	s_mul_i32 s0, s0, s1
	s_mul_hi_u32 s0, s1, s0
	s_add_i32 s1, s1, s0
	s_mul_hi_u32 s0, s2, s1
	s_mul_i32 s3, s0, s24
	s_sub_i32 s2, s2, s3
	s_add_i32 s1, s0, 1
	s_sub_i32 s3, s2, s24
	s_cmp_ge_u32 s2, s24
	s_cselect_b32 s0, s1, s0
	s_cselect_b32 s2, s3, s2
	s_add_i32 s1, s0, 1
	s_cmp_ge_u32 s2, s24
	s_cselect_b32 s26, s1, s0
.LBB0_12:
	s_lshl_b64 s[0:1], s[10:11], 3
	s_add_u32 s0, s14, s0
	s_addc_u32 s1, s15, s1
	s_load_dwordx2 s[0:1], s[0:1], 0x0
	v_mul_u32_u24_e32 v1, 0x1c72, v0
	v_mov_b64_e32 v[2:3], s[20:21]
	v_lshrrev_b32_e32 v1, 16, v1
	v_lshlrev_b32_e32 v6, 4, v1
	s_waitcnt lgkmcnt(0)
	s_mul_i32 s1, s1, s26
	s_mul_hi_u32 s2, s0, s26
	s_mul_i32 s0, s0, s26
	s_add_i32 s1, s2, s1
	s_add_u32 s2, s0, s40
	s_addc_u32 s3, s1, s33
	s_add_u32 s0, s22, 9
	s_addc_u32 s1, s23, 0
	v_cmp_le_u64_e32 vcc, s[0:1], v[2:3]
	v_mul_lo_u16_e32 v2, 9, v1
	s_mov_b32 s0, 0
	v_sub_u16_e32 v2, v0, v2
	v_mov_b32_e32 v3, s0
	v_lshl_add_u64 v[4:5], s[22:23], 0, v[2:3]
	v_cmp_gt_u64_e64 s[0:1], s[20:21], v[4:5]
	s_or_b64 s[0:1], vcc, s[0:1]
	v_add_u32_e32 v3, 36, v1
	s_and_saveexec_b64 s[10:11], s[0:1]
	s_cbranch_execz .LBB0_14
; %bb.13:
	v_mad_u64_u32 v[4:5], s[12:13], s6, v2, 0
	v_mov_b32_e32 v8, v5
	v_mad_u64_u32 v[8:9], s[12:13], s7, v2, v[8:9]
	v_mov_b32_e32 v5, v8
	;; [unrolled: 2-line block ×3, first 2 shown]
	v_mad_u64_u32 v[10:11], s[12:13], s5, v1, v[10:11]
	s_lshl_b64 s[12:13], s[2:3], 4
	s_add_u32 s12, s16, s12
	s_addc_u32 s13, s17, s13
	v_mov_b32_e32 v9, v10
	v_lshl_add_u64 v[4:5], v[4:5], 4, s[12:13]
	v_lshl_add_u64 v[16:17], v[8:9], 4, v[4:5]
	v_mad_u64_u32 v[8:9], s[12:13], s4, v3, 0
	v_mov_b32_e32 v10, v9
	v_mad_u64_u32 v[10:11], s[12:13], s5, v3, v[10:11]
	v_mov_b32_e32 v9, v10
	v_add_u32_e32 v7, 0x48, v1
	v_lshl_add_u64 v[18:19], v[8:9], 4, v[4:5]
	global_load_dwordx4 v[8:11], v[16:17], off
	global_load_dwordx4 v[12:15], v[18:19], off
	v_mad_u64_u32 v[16:17], s[12:13], s4, v7, 0
	v_mov_b32_e32 v18, v17
	v_mad_u64_u32 v[18:19], s[12:13], s5, v7, v[18:19]
	v_mov_b32_e32 v17, v18
	v_add_u32_e32 v7, 0x6c, v1
	v_lshl_add_u64 v[24:25], v[16:17], 4, v[4:5]
	v_mad_u64_u32 v[16:17], s[12:13], s4, v7, 0
	v_mov_b32_e32 v18, v17
	v_mad_u64_u32 v[18:19], s[12:13], s5, v7, v[18:19]
	v_mov_b32_e32 v17, v18
	v_add_u32_e32 v7, 0x90, v1
	v_lshl_add_u64 v[26:27], v[16:17], 4, v[4:5]
	global_load_dwordx4 v[16:19], v[24:25], off
	global_load_dwordx4 v[20:23], v[26:27], off
	v_mad_u64_u32 v[24:25], s[12:13], s4, v7, 0
	v_mov_b32_e32 v26, v25
	v_mad_u64_u32 v[26:27], s[12:13], s5, v7, v[26:27]
	v_mov_b32_e32 v25, v26
	v_add_u32_e32 v7, 0xb4, v1
	v_lshl_add_u64 v[32:33], v[24:25], 4, v[4:5]
	v_mad_u64_u32 v[24:25], s[12:13], s4, v7, 0
	v_mov_b32_e32 v26, v25
	v_mad_u64_u32 v[26:27], s[12:13], s5, v7, v[26:27]
	v_mov_b32_e32 v25, v26
	v_lshl_add_u64 v[4:5], v[24:25], 4, v[4:5]
	global_load_dwordx4 v[24:27], v[32:33], off
	global_load_dwordx4 v[28:31], v[4:5], off
	v_mul_u32_u24_e32 v4, 0xd80, v2
	v_add3_u32 v4, 0, v4, v6
	s_waitcnt vmcnt(5)
	ds_write_b128 v4, v[8:11]
	s_waitcnt vmcnt(4)
	ds_write_b128 v4, v[12:15] offset:576
	s_waitcnt vmcnt(3)
	ds_write_b128 v4, v[16:19] offset:1152
	;; [unrolled: 2-line block ×5, first 2 shown]
.LBB0_14:
	s_or_b64 exec, exec, s[10:11]
	s_movk_i32 s10, 0x71d
	v_mul_u32_u24_sdwa v4, v0, s10 dst_sel:DWORD dst_unused:UNUSED_PAD src0_sel:WORD_0 src1_sel:DWORD
	s_add_u32 s10, 0, 0x71c4fc00
	s_addc_u32 s11, 0, 0x7c
	s_add_i32 s11, s11, 0x1c71c6a0
	s_mul_hi_u32 s15, s10, -9
	s_sub_i32 s15, s15, s10
	s_mul_i32 s20, s11, -9
	s_mul_i32 s12, s10, -9
	s_add_i32 s15, s15, s20
	s_mul_hi_u32 s13, s11, s12
	s_mul_i32 s14, s11, s12
	s_mul_i32 s21, s10, s15
	s_mul_hi_u32 s12, s10, s12
	s_mul_hi_u32 s20, s10, s15
	s_add_u32 s12, s12, s21
	s_addc_u32 s20, 0, s20
	s_add_u32 s12, s12, s14
	s_mul_hi_u32 s21, s11, s15
	s_addc_u32 s12, s20, s13
	s_addc_u32 s13, s21, 0
	s_mul_i32 s14, s11, s15
	s_add_u32 s12, s12, s14
	v_mov_b32_e32 v7, s12
	s_addc_u32 s13, 0, s13
	v_add_co_u32_e32 v7, vcc, s10, v7
	v_lshrrev_b32_e32 v8, 16, v4
	v_mov_b32_e32 v9, 0
	s_cmp_lg_u64 vcc, 0
	v_lshl_add_u64 v[4:5], s[22:23], 0, v[8:9]
	s_addc_u32 s12, s11, s13
	v_mad_u64_u32 v[10:11], s[10:11], v4, s12, 0
	v_mul_hi_u32 v12, v4, v7
	v_mov_b32_e32 v13, v9
	v_lshl_add_u64 v[10:11], v[12:13], 0, v[10:11]
	v_mad_u64_u32 v[14:15], s[10:11], v5, v7, 0
	v_add_co_u32_e32 v7, vcc, v10, v14
	v_mad_u64_u32 v[12:13], s[10:11], v5, s12, 0
	s_nop 0
	v_addc_co_u32_e32 v10, vcc, v11, v15, vcc
	v_mov_b32_e32 v11, v9
	s_nop 0
	v_addc_co_u32_e32 v13, vcc, 0, v13, vcc
	v_lshl_add_u64 v[10:11], v[10:11], 0, v[12:13]
	v_mad_u64_u32 v[12:13], s[10:11], v10, 9, 0
	v_mov_b32_e32 v10, v13
	v_mad_u64_u32 v[10:11], s[10:11], v11, 9, v[10:11]
	v_sub_co_u32_e32 v7, vcc, v4, v12
	s_waitcnt lgkmcnt(0)
	s_nop 0
	v_subb_co_u32_e32 v5, vcc, v5, v10, vcc
	v_subrev_co_u32_e32 v9, vcc, 9, v7
	s_barrier
	s_nop 0
	v_subbrev_co_u32_e32 v10, vcc, 0, v5, vcc
	v_cmp_lt_u32_e32 vcc, 8, v9
	s_mov_b32 s10, 0xe8584caa
	s_nop 0
	v_cndmask_b32_e64 v11, 0, -1, vcc
	v_cmp_eq_u32_e32 vcc, 0, v10
	s_mov_b32 s11, 0x3febb67a
	s_mov_b32 s13, 0xbfebb67a
	v_cndmask_b32_e32 v10, -1, v11, vcc
	v_add_u32_e32 v11, -9, v9
	v_cmp_ne_u32_e32 vcc, 0, v10
	s_mov_b32 s12, s10
	s_movk_i32 s14, 0x50
	v_cndmask_b32_e32 v9, v9, v11, vcc
	v_cmp_lt_u32_e32 vcc, 8, v7
	v_mov_b32_e32 v66, 0x1000
	s_nop 0
	v_cndmask_b32_e64 v10, 0, -1, vcc
	v_cmp_eq_u32_e32 vcc, 0, v5
	s_nop 1
	v_cndmask_b32_e32 v5, -1, v10, vcc
	v_cmp_ne_u32_e32 vcc, 0, v5
	s_nop 1
	v_cndmask_b32_e32 v5, v7, v9, vcc
	v_mul_u32_u24_e32 v7, 0xd8, v5
	v_mul_lo_u16_e32 v5, 36, v8
	v_sub_u16_e32 v5, v0, v5
	v_lshlrev_b32_e32 v50, 4, v7
	v_lshlrev_b32_e32 v0, 4, v5
	v_add3_u32 v7, 0, v50, v0
	v_add3_u32 v0, 0, v0, v50
	ds_read_b128 v[8:11], v0 offset:1152
	ds_read_b128 v[12:15], v7
	ds_read_b128 v[16:19], v0 offset:2304
	ds_read_b128 v[20:23], v0 offset:576
	;; [unrolled: 1-line block ×4, first 2 shown]
	s_waitcnt lgkmcnt(4)
	v_add_f64 v[32:33], v[12:13], v[8:9]
	s_waitcnt lgkmcnt(3)
	v_add_f64 v[34:35], v[8:9], v[16:17]
	v_fmac_f64_e32 v[12:13], -0.5, v[34:35]
	v_add_f64 v[34:35], v[10:11], -v[18:19]
	v_fma_f64 v[36:37], s[10:11], v[34:35], v[12:13]
	v_fmac_f64_e32 v[12:13], s[12:13], v[34:35]
	v_add_f64 v[34:35], v[14:15], v[10:11]
	v_add_f64 v[10:11], v[10:11], v[18:19]
	v_fmac_f64_e32 v[14:15], -0.5, v[10:11]
	v_add_f64 v[8:9], v[8:9], -v[16:17]
	v_fma_f64 v[38:39], s[12:13], v[8:9], v[14:15]
	v_fmac_f64_e32 v[14:15], s[10:11], v[8:9]
	s_waitcnt lgkmcnt(1)
	v_add_f64 v[8:9], v[20:21], v[24:25]
	s_waitcnt lgkmcnt(0)
	v_add_f64 v[40:41], v[8:9], v[28:29]
	v_add_f64 v[8:9], v[24:25], v[28:29]
	v_fmac_f64_e32 v[20:21], -0.5, v[8:9]
	v_add_f64 v[8:9], v[26:27], -v[30:31]
	v_add_f64 v[34:35], v[34:35], v[18:19]
	v_fma_f64 v[18:19], s[10:11], v[8:9], v[20:21]
	v_fmac_f64_e32 v[20:21], s[12:13], v[8:9]
	v_add_f64 v[8:9], v[22:23], v[26:27]
	v_add_f64 v[42:43], v[8:9], v[30:31]
	;; [unrolled: 1-line block ×3, first 2 shown]
	v_fmac_f64_e32 v[22:23], -0.5, v[8:9]
	v_add_f64 v[8:9], v[24:25], -v[28:29]
	v_fma_f64 v[26:27], s[12:13], v[8:9], v[22:23]
	v_fmac_f64_e32 v[22:23], s[10:11], v[8:9]
	v_add_f64 v[32:33], v[32:33], v[16:17]
	v_mul_f64 v[28:29], v[26:27], s[10:11]
	v_mul_f64 v[30:31], v[20:21], -0.5
	v_mul_f64 v[44:45], v[18:19], s[12:13]
	v_mul_f64 v[46:47], v[22:23], -0.5
	v_add_f64 v[8:9], v[32:33], v[40:41]
	v_fmac_f64_e32 v[28:29], 0.5, v[18:19]
	v_fmac_f64_e32 v[30:31], s[10:11], v[22:23]
	v_add_f64 v[10:11], v[34:35], v[42:43]
	v_fmac_f64_e32 v[44:45], 0.5, v[26:27]
	v_fmac_f64_e32 v[46:47], s[12:13], v[20:21]
	v_add_f64 v[20:21], v[32:33], -v[40:41]
	v_mad_u32_u24 v32, v5, s14, v0
	s_movk_i32 s14, 0xab
	v_add_f64 v[16:17], v[36:37], v[28:29]
	v_add_f64 v[24:25], v[12:13], v[30:31]
	;; [unrolled: 1-line block ×4, first 2 shown]
	v_add_f64 v[28:29], v[36:37], -v[28:29]
	v_add_f64 v[12:13], v[12:13], -v[30:31]
	;; [unrolled: 1-line block ×5, first 2 shown]
	s_barrier
	ds_write_b128 v32, v[8:11]
	ds_write_b128 v32, v[16:19] offset:16
	ds_write_b128 v32, v[24:27] offset:32
	;; [unrolled: 1-line block ×5, first 2 shown]
	v_mul_lo_u16_sdwa v8, v5, s14 dst_sel:DWORD dst_unused:UNUSED_PAD src0_sel:BYTE_0 src1_sel:DWORD
	v_lshrrev_b16_e32 v51, 10, v8
	v_mul_lo_u16_e32 v8, 6, v51
	v_sub_u16_e32 v52, v5, v8
	v_mov_b32_e32 v8, 5
	v_mul_u32_u24_sdwa v8, v52, v8 dst_sel:DWORD dst_unused:UNUSED_PAD src0_sel:BYTE_0 src1_sel:DWORD
	v_lshlrev_b32_e32 v28, 4, v8
	s_waitcnt lgkmcnt(0)
	s_barrier
	global_load_dwordx4 v[8:11], v28, s[18:19]
	global_load_dwordx4 v[12:15], v28, s[18:19] offset:16
	global_load_dwordx4 v[16:19], v28, s[18:19] offset:32
	;; [unrolled: 1-line block ×4, first 2 shown]
	ds_read_b128 v[28:31], v0 offset:576
	ds_read_b128 v[32:35], v7
	ds_read_b128 v[36:39], v0 offset:1152
	ds_read_b128 v[40:43], v0 offset:1728
	;; [unrolled: 1-line block ×3, first 2 shown]
	s_movk_i32 s14, 0x240
	s_waitcnt vmcnt(4) lgkmcnt(4)
	v_mul_f64 v[48:49], v[30:31], v[10:11]
	v_fma_f64 v[48:49], v[28:29], v[8:9], -v[48:49]
	v_mul_f64 v[28:29], v[28:29], v[10:11]
	v_fmac_f64_e32 v[28:29], v[30:31], v[8:9]
	ds_read_b128 v[8:11], v0 offset:2880
	s_waitcnt vmcnt(3) lgkmcnt(3)
	v_mul_f64 v[30:31], v[38:39], v[14:15]
	v_mul_f64 v[14:15], v[36:37], v[14:15]
	v_fma_f64 v[30:31], v[36:37], v[12:13], -v[30:31]
	v_fmac_f64_e32 v[14:15], v[38:39], v[12:13]
	s_waitcnt vmcnt(2) lgkmcnt(2)
	v_mul_f64 v[12:13], v[42:43], v[18:19]
	v_mul_f64 v[18:19], v[40:41], v[18:19]
	v_fma_f64 v[12:13], v[40:41], v[16:17], -v[12:13]
	v_fmac_f64_e32 v[18:19], v[42:43], v[16:17]
	;; [unrolled: 5-line block ×3, first 2 shown]
	s_waitcnt vmcnt(0) lgkmcnt(0)
	v_mul_f64 v[20:21], v[10:11], v[26:27]
	v_fma_f64 v[20:21], v[8:9], v[24:25], -v[20:21]
	v_mul_f64 v[8:9], v[8:9], v[26:27]
	v_fmac_f64_e32 v[8:9], v[10:11], v[24:25]
	v_add_f64 v[10:11], v[32:33], v[30:31]
	v_add_f64 v[24:25], v[10:11], v[16:17]
	v_add_f64 v[10:11], v[30:31], v[16:17]
	v_fmac_f64_e32 v[32:33], -0.5, v[10:11]
	v_add_f64 v[10:11], v[14:15], -v[22:23]
	v_fma_f64 v[26:27], s[10:11], v[10:11], v[32:33]
	v_fmac_f64_e32 v[32:33], s[12:13], v[10:11]
	v_add_f64 v[10:11], v[34:35], v[14:15]
	v_add_f64 v[36:37], v[10:11], v[22:23]
	v_add_f64 v[10:11], v[14:15], v[22:23]
	v_fmac_f64_e32 v[34:35], -0.5, v[10:11]
	v_add_f64 v[10:11], v[30:31], -v[16:17]
	v_fma_f64 v[38:39], s[12:13], v[10:11], v[34:35]
	;; [unrolled: 7-line block ×4, first 2 shown]
	v_fmac_f64_e32 v[28:29], s[10:11], v[8:9]
	v_mul_f64 v[8:9], v[20:21], s[10:11]
	v_fmac_f64_e32 v[8:9], 0.5, v[16:17]
	v_mul_f64 v[30:31], v[48:49], -0.5
	v_mul_f64 v[44:45], v[28:29], -0.5
	v_add_f64 v[14:15], v[26:27], v[8:9]
	v_fmac_f64_e32 v[30:31], s[10:11], v[28:29]
	v_mul_f64 v[42:43], v[16:17], s[12:13]
	v_fmac_f64_e32 v[44:45], s[12:13], v[48:49]
	v_add_f64 v[26:27], v[26:27], -v[8:9]
	v_mov_b32_e32 v8, 4
	v_add_f64 v[18:19], v[32:33], v[30:31]
	v_fmac_f64_e32 v[42:43], 0.5, v[20:21]
	v_add_f64 v[20:21], v[34:35], v[44:45]
	v_add_f64 v[30:31], v[32:33], -v[30:31]
	v_add_f64 v[32:33], v[34:35], -v[44:45]
	v_mad_u32_u24 v9, v51, s14, 0
	v_lshlrev_b32_sdwa v34, v8, v52 dst_sel:DWORD dst_unused:UNUSED_PAD src0_sel:DWORD src1_sel:BYTE_0
	v_add_f64 v[10:11], v[24:25], v[22:23]
	v_add_f64 v[12:13], v[36:37], v[40:41]
	v_add3_u32 v9, v9, v34, v50
	v_add_f64 v[16:17], v[38:39], v[42:43]
	v_add_f64 v[22:23], v[24:25], -v[22:23]
	v_add_f64 v[24:25], v[36:37], -v[40:41]
	;; [unrolled: 1-line block ×3, first 2 shown]
	s_barrier
	ds_write_b128 v9, v[10:13]
	ds_write_b128 v9, v[14:17] offset:96
	ds_write_b128 v9, v[18:21] offset:192
	;; [unrolled: 1-line block ×5, first 2 shown]
	v_mul_u32_u24_e32 v9, 5, v5
	v_lshlrev_b32_e32 v9, 4, v9
	s_waitcnt lgkmcnt(0)
	s_barrier
	global_load_dwordx4 v[10:13], v9, s[18:19] offset:480
	global_load_dwordx4 v[14:17], v9, s[18:19] offset:496
	;; [unrolled: 1-line block ×5, first 2 shown]
	v_mul_lo_u32 v9, v4, v5
	v_lshlrev_b32_sdwa v38, v8, v9 dst_sel:DWORD dst_unused:UNUSED_PAD src0_sel:DWORD src1_sel:BYTE_0
	v_bfe_u32 v9, v9, 8, 8
	v_lshl_or_b32 v9, v9, 4, v66
	global_load_dwordx4 v[30:33], v38, s[8:9]
	global_load_dwordx4 v[34:37], v9, s[8:9]
	ds_read_b128 v[38:41], v0 offset:576
	ds_read_b128 v[42:45], v0 offset:1152
	;; [unrolled: 1-line block ×3, first 2 shown]
	v_add_u32_e32 v9, 36, v5
	v_mul_lo_u32 v9, v4, v9
	s_waitcnt vmcnt(6) lgkmcnt(2)
	v_mul_f64 v[50:51], v[40:41], v[12:13]
	v_fma_f64 v[50:51], v[38:39], v[10:11], -v[50:51]
	v_mul_f64 v[38:39], v[38:39], v[12:13]
	v_fmac_f64_e32 v[38:39], v[40:41], v[10:11]
	ds_read_b128 v[10:13], v0 offset:2304
	s_waitcnt vmcnt(5) lgkmcnt(2)
	v_mul_f64 v[40:41], v[44:45], v[16:17]
	v_fma_f64 v[40:41], v[42:43], v[14:15], -v[40:41]
	v_mul_f64 v[42:43], v[42:43], v[16:17]
	v_fmac_f64_e32 v[42:43], v[44:45], v[14:15]
	ds_read_b128 v[14:17], v0 offset:2880
	s_waitcnt vmcnt(4) lgkmcnt(2)
	v_mul_f64 v[44:45], v[48:49], v[20:21]
	v_fma_f64 v[44:45], v[46:47], v[18:19], -v[44:45]
	v_mul_f64 v[46:47], v[46:47], v[20:21]
	v_fmac_f64_e32 v[46:47], v[48:49], v[18:19]
	s_waitcnt vmcnt(3) lgkmcnt(1)
	v_mul_f64 v[18:19], v[12:13], v[24:25]
	v_mul_f64 v[52:53], v[10:11], v[24:25]
	v_fma_f64 v[48:49], v[10:11], v[22:23], -v[18:19]
	v_fmac_f64_e32 v[52:53], v[12:13], v[22:23]
	v_lshlrev_b32_sdwa v22, v8, v9 dst_sel:DWORD dst_unused:UNUSED_PAD src0_sel:DWORD src1_sel:BYTE_0
	v_bfe_u32 v9, v9, 8, 8
	v_lshl_or_b32 v9, v9, 4, v66
	global_load_dwordx4 v[10:13], v22, s[8:9]
	global_load_dwordx4 v[18:21], v9, s[8:9]
	s_waitcnt vmcnt(4) lgkmcnt(0)
	v_mul_f64 v[22:23], v[16:17], v[28:29]
	v_mul_f64 v[28:29], v[14:15], v[28:29]
	v_fma_f64 v[54:55], v[14:15], v[26:27], -v[22:23]
	v_fmac_f64_e32 v[28:29], v[16:17], v[26:27]
	ds_read_b128 v[14:17], v7
	s_waitcnt vmcnt(2)
	v_mul_f64 v[26:27], v[30:31], v[36:37]
	v_mul_f64 v[22:23], v[32:33], v[36:37]
	v_fmac_f64_e32 v[26:27], v[32:33], v[34:35]
	v_add_f64 v[32:33], v[40:41], v[48:49]
	v_fma_f64 v[56:57], v[30:31], v[34:35], -v[22:23]
	s_waitcnt lgkmcnt(0)
	v_add_f64 v[30:31], v[14:15], v[40:41]
	v_fmac_f64_e32 v[14:15], -0.5, v[32:33]
	v_add_f64 v[32:33], v[42:43], -v[52:53]
	v_add_f64 v[36:37], v[42:43], v[52:53]
	v_fma_f64 v[34:35], s[10:11], v[32:33], v[14:15]
	v_fmac_f64_e32 v[14:15], s[12:13], v[32:33]
	v_add_f64 v[32:33], v[16:17], v[42:43]
	v_fmac_f64_e32 v[16:17], -0.5, v[36:37]
	v_add_f64 v[36:37], v[40:41], -v[48:49]
	v_add_f64 v[40:41], v[44:45], v[54:55]
	v_fma_f64 v[42:43], s[12:13], v[36:37], v[16:17]
	v_fmac_f64_e32 v[16:17], s[10:11], v[36:37]
	;; [unrolled: 6-line block ×3, first 2 shown]
	v_add_f64 v[40:41], v[38:39], v[46:47]
	v_add_f64 v[40:41], v[40:41], v[28:29]
	;; [unrolled: 1-line block ×3, first 2 shown]
	v_fmac_f64_e32 v[38:39], -0.5, v[28:29]
	v_add_f64 v[28:29], v[44:45], -v[54:55]
	v_fma_f64 v[44:45], s[12:13], v[28:29], v[38:39]
	v_mul_f64 v[46:47], v[44:45], s[10:11]
	v_add_u32_e32 v9, 0x48, v5
	v_fmac_f64_e32 v[46:47], 0.5, v[48:49]
	v_mul_f64 v[48:49], v[48:49], s[12:13]
	v_mul_lo_u32 v9, v4, v9
	v_add_f64 v[32:33], v[32:33], v[52:53]
	v_add_f64 v[36:37], v[36:37], v[54:55]
	v_fmac_f64_e32 v[38:39], s[10:11], v[28:29]
	v_fmac_f64_e32 v[48:49], 0.5, v[44:45]
	v_mul_f64 v[44:45], v[50:51], -0.5
	v_lshlrev_b32_sdwa v24, v8, v9 dst_sel:DWORD dst_unused:UNUSED_PAD src0_sel:DWORD src1_sel:BYTE_0
	v_bfe_u32 v9, v9, 8, 8
	v_add_f64 v[28:29], v[30:31], v[36:37]
	v_fmac_f64_e32 v[44:45], s[10:11], v[38:39]
	v_mul_f64 v[38:39], v[38:39], -0.5
	v_add_f64 v[54:55], v[30:31], -v[36:37]
	v_add_f64 v[30:31], v[32:33], v[40:41]
	v_lshl_or_b32 v9, v9, 4, v66
	v_fmac_f64_e32 v[38:39], s[12:13], v[50:51]
	v_add_f64 v[50:51], v[14:15], v[44:45]
	v_add_f64 v[60:61], v[14:15], -v[44:45]
	v_mul_f64 v[14:15], v[30:31], v[26:27]
	global_load_dwordx4 v[22:25], v24, s[8:9]
	v_add_f64 v[58:59], v[16:17], v[38:39]
	v_add_f64 v[62:63], v[16:17], -v[38:39]
	v_fma_f64 v[14:15], v[28:29], v[56:57], -v[14:15]
	v_mul_f64 v[16:17], v[28:29], v[26:27]
	global_load_dwordx4 v[26:29], v9, s[8:9]
	v_add_u32_e32 v7, 0x6c, v5
	v_fmac_f64_e32 v[16:17], v[30:31], v[56:57]
	v_mul_lo_u32 v7, v4, v7
	v_lshlrev_b32_sdwa v9, v8, v7 dst_sel:DWORD dst_unused:UNUSED_PAD src0_sel:DWORD src1_sel:BYTE_0
	v_bfe_u32 v7, v7, 8, 8
	v_lshl_or_b32 v7, v7, 4, v66
	v_add_f64 v[52:53], v[34:35], v[46:47]
	v_add_f64 v[46:47], v[34:35], -v[46:47]
	v_add_f64 v[34:35], v[42:43], v[48:49]
	v_add_f64 v[64:65], v[32:33], -v[40:41]
	s_waitcnt vmcnt(2)
	v_mul_f64 v[30:31], v[12:13], v[20:21]
	v_fma_f64 v[36:37], v[10:11], v[18:19], -v[30:31]
	v_mul_f64 v[30:31], v[10:11], v[20:21]
	v_fmac_f64_e32 v[30:31], v[12:13], v[18:19]
	v_mul_f64 v[10:11], v[34:35], v[30:31]
	v_fma_f64 v[10:11], v[52:53], v[36:37], -v[10:11]
	s_waitcnt vmcnt(0)
	v_mul_f64 v[12:13], v[24:25], v[28:29]
	v_mul_f64 v[38:39], v[22:23], v[28:29]
	v_fma_f64 v[56:57], v[22:23], v[26:27], -v[12:13]
	v_fmac_f64_e32 v[38:39], v[24:25], v[26:27]
	global_load_dwordx4 v[18:21], v9, s[8:9]
	global_load_dwordx4 v[22:25], v7, s[8:9]
	v_add_u32_e32 v7, 0x90, v5
	v_mul_lo_u32 v7, v4, v7
	v_lshlrev_b32_sdwa v9, v8, v7 dst_sel:DWORD dst_unused:UNUSED_PAD src0_sel:DWORD src1_sel:BYTE_0
	v_bfe_u32 v7, v7, 8, 8
	v_lshl_or_b32 v7, v7, 4, v66
	v_add_u32_e32 v5, 0xb4, v5
	v_mul_f64 v[12:13], v[52:53], v[30:31]
	global_load_dwordx4 v[26:29], v9, s[8:9]
	v_mul_lo_u32 v4, v4, v5
	global_load_dwordx4 v[30:33], v7, s[8:9]
	v_lshlrev_b32_sdwa v8, v8, v4 dst_sel:DWORD dst_unused:UNUSED_PAD src0_sel:DWORD src1_sel:BYTE_0
	v_bfe_u32 v4, v4, 8, 8
	v_lshl_or_b32 v9, v4, 4, v66
	v_mul_f64 v[4:5], v[58:59], v[38:39]
	v_fmac_f64_e32 v[12:13], v[34:35], v[36:37]
	v_fma_f64 v[34:35], v[50:51], v[56:57], -v[4:5]
	v_mul_f64 v[36:37], v[50:51], v[38:39]
	global_load_dwordx4 v[38:41], v8, s[8:9]
	v_add_f64 v[4:5], v[42:43], -v[48:49]
	global_load_dwordx4 v[42:45], v9, s[8:9]
	v_fmac_f64_e32 v[36:37], v[58:59], v[56:57]
	s_barrier
	s_waitcnt vmcnt(4)
	v_mul_f64 v[8:9], v[20:21], v[24:25]
	v_mul_f64 v[24:25], v[18:19], v[24:25]
	v_fmac_f64_e32 v[24:25], v[20:21], v[22:23]
	v_fma_f64 v[8:9], v[18:19], v[22:23], -v[8:9]
	v_mul_f64 v[18:19], v[64:65], v[24:25]
	v_mul_f64 v[20:21], v[54:55], v[24:25]
	v_fma_f64 v[18:19], v[54:55], v[8:9], -v[18:19]
	v_fmac_f64_e32 v[20:21], v[64:65], v[8:9]
	s_waitcnt vmcnt(2)
	v_mul_f64 v[24:25], v[26:27], v[32:33]
	v_mul_f64 v[8:9], v[28:29], v[32:33]
	v_fmac_f64_e32 v[24:25], v[28:29], v[30:31]
	v_fma_f64 v[8:9], v[26:27], v[30:31], -v[8:9]
	v_mul_f64 v[22:23], v[4:5], v[24:25]
	v_mul_f64 v[24:25], v[46:47], v[24:25]
	v_fma_f64 v[22:23], v[46:47], v[8:9], -v[22:23]
	v_fmac_f64_e32 v[24:25], v[4:5], v[8:9]
	s_waitcnt vmcnt(0)
	v_mul_f64 v[8:9], v[38:39], v[44:45]
	v_mul_f64 v[4:5], v[40:41], v[44:45]
	v_fmac_f64_e32 v[8:9], v[40:41], v[42:43]
	v_fma_f64 v[4:5], v[38:39], v[42:43], -v[4:5]
	v_mul_f64 v[26:27], v[62:63], v[8:9]
	v_mul_f64 v[28:29], v[60:61], v[8:9]
	v_fma_f64 v[26:27], v[60:61], v[4:5], -v[26:27]
	v_fmac_f64_e32 v[28:29], v[62:63], v[4:5]
	ds_write_b128 v0, v[14:17]
	ds_write_b128 v0, v[10:13] offset:576
	ds_write_b128 v0, v[34:37] offset:1152
	;; [unrolled: 1-line block ×5, first 2 shown]
	s_waitcnt lgkmcnt(0)
	s_barrier
	s_and_saveexec_b64 s[8:9], s[0:1]
	s_cbranch_execz .LBB0_16
; %bb.15:
	v_mad_u64_u32 v[8:9], s[0:1], s6, v2, 0
	v_mov_b32_e32 v0, v9
	v_mad_u64_u32 v[10:11], s[0:1], s4, v1, 0
	v_mad_u64_u32 v[4:5], s[0:1], s7, v2, v[0:1]
	v_mov_b32_e32 v0, v11
	v_mov_b32_e32 v9, v4
	v_mad_u64_u32 v[4:5], s[0:1], s5, v1, v[0:1]
	v_mul_u32_u24_e32 v0, 0xd80, v2
	v_add3_u32 v16, 0, v0, v6
	v_mov_b32_e32 v11, v4
	s_lshl_b64 s[0:1], s[2:3], 4
	ds_read_b128 v[4:7], v16
	s_add_u32 s0, s16, s0
	s_addc_u32 s1, s17, s1
	v_lshl_add_u64 v[12:13], v[8:9], 4, s[0:1]
	v_lshl_add_u64 v[14:15], v[10:11], 4, v[12:13]
	ds_read_b128 v[8:11], v16 offset:576
	s_waitcnt lgkmcnt(1)
	global_store_dwordx4 v[14:15], v[4:7], off
	s_nop 1
	v_mad_u64_u32 v[4:5], s[0:1], s4, v3, 0
	v_mov_b32_e32 v0, v5
	v_mad_u64_u32 v[2:3], s[0:1], s5, v3, v[0:1]
	v_mov_b32_e32 v5, v2
	v_lshl_add_u64 v[2:3], v[4:5], 4, v[12:13]
	s_waitcnt lgkmcnt(0)
	global_store_dwordx4 v[2:3], v[8:11], off
	ds_read_b128 v[2:5], v16 offset:1152
	s_nop 0
	v_add_u32_e32 v8, 0x48, v1
	v_mad_u64_u32 v[6:7], s[0:1], s4, v8, 0
	v_mov_b32_e32 v0, v7
	v_mad_u64_u32 v[8:9], s[0:1], s5, v8, v[0:1]
	v_mov_b32_e32 v7, v8
	v_lshl_add_u64 v[10:11], v[6:7], 4, v[12:13]
	ds_read_b128 v[6:9], v16 offset:1728
	s_waitcnt lgkmcnt(1)
	global_store_dwordx4 v[10:11], v[2:5], off
	s_nop 1
	v_add_u32_e32 v4, 0x6c, v1
	v_mad_u64_u32 v[2:3], s[0:1], s4, v4, 0
	v_mov_b32_e32 v0, v3
	v_mad_u64_u32 v[4:5], s[0:1], s5, v4, v[0:1]
	v_mov_b32_e32 v3, v4
	v_lshl_add_u64 v[2:3], v[2:3], 4, v[12:13]
	s_waitcnt lgkmcnt(0)
	global_store_dwordx4 v[2:3], v[6:9], off
	ds_read_b128 v[2:5], v16 offset:2304
	s_nop 0
	v_add_u32_e32 v8, 0x90, v1
	v_mad_u64_u32 v[6:7], s[0:1], s4, v8, 0
	v_mov_b32_e32 v0, v7
	v_mad_u64_u32 v[8:9], s[0:1], s5, v8, v[0:1]
	v_mov_b32_e32 v7, v8
	v_lshl_add_u64 v[10:11], v[6:7], 4, v[12:13]
	ds_read_b128 v[6:9], v16 offset:2880
	s_waitcnt lgkmcnt(1)
	global_store_dwordx4 v[10:11], v[2:5], off
	s_nop 1
	v_add_u32_e32 v3, 0xb4, v1
	v_mad_u64_u32 v[0:1], s[0:1], s4, v3, 0
	v_mov_b32_e32 v2, v1
	v_mad_u64_u32 v[2:3], s[0:1], s5, v3, v[2:3]
	v_mov_b32_e32 v1, v2
	v_lshl_add_u64 v[0:1], v[0:1], 4, v[12:13]
	s_waitcnt lgkmcnt(0)
	global_store_dwordx4 v[0:1], v[6:9], off
.LBB0_16:
	s_endpgm
	.section	.rodata,"a",@progbits
	.p2align	6, 0x0
	.amdhsa_kernel fft_rtc_fwd_len216_factors_6_6_6_wgs_324_tpt_36_dp_ip_CI_sbcc_twdbase8_2step
		.amdhsa_group_segment_fixed_size 0
		.amdhsa_private_segment_fixed_size 0
		.amdhsa_kernarg_size 96
		.amdhsa_user_sgpr_count 2
		.amdhsa_user_sgpr_dispatch_ptr 0
		.amdhsa_user_sgpr_queue_ptr 0
		.amdhsa_user_sgpr_kernarg_segment_ptr 1
		.amdhsa_user_sgpr_dispatch_id 0
		.amdhsa_user_sgpr_kernarg_preload_length 0
		.amdhsa_user_sgpr_kernarg_preload_offset 0
		.amdhsa_user_sgpr_private_segment_size 0
		.amdhsa_uses_dynamic_stack 0
		.amdhsa_enable_private_segment 0
		.amdhsa_system_sgpr_workgroup_id_x 1
		.amdhsa_system_sgpr_workgroup_id_y 0
		.amdhsa_system_sgpr_workgroup_id_z 0
		.amdhsa_system_sgpr_workgroup_info 0
		.amdhsa_system_vgpr_workitem_id 0
		.amdhsa_next_free_vgpr 67
		.amdhsa_next_free_sgpr 45
		.amdhsa_accum_offset 68
		.amdhsa_reserve_vcc 1
		.amdhsa_float_round_mode_32 0
		.amdhsa_float_round_mode_16_64 0
		.amdhsa_float_denorm_mode_32 3
		.amdhsa_float_denorm_mode_16_64 3
		.amdhsa_dx10_clamp 1
		.amdhsa_ieee_mode 1
		.amdhsa_fp16_overflow 0
		.amdhsa_tg_split 0
		.amdhsa_exception_fp_ieee_invalid_op 0
		.amdhsa_exception_fp_denorm_src 0
		.amdhsa_exception_fp_ieee_div_zero 0
		.amdhsa_exception_fp_ieee_overflow 0
		.amdhsa_exception_fp_ieee_underflow 0
		.amdhsa_exception_fp_ieee_inexact 0
		.amdhsa_exception_int_div_zero 0
	.end_amdhsa_kernel
	.text
.Lfunc_end0:
	.size	fft_rtc_fwd_len216_factors_6_6_6_wgs_324_tpt_36_dp_ip_CI_sbcc_twdbase8_2step, .Lfunc_end0-fft_rtc_fwd_len216_factors_6_6_6_wgs_324_tpt_36_dp_ip_CI_sbcc_twdbase8_2step
                                        ; -- End function
	.section	.AMDGPU.csdata,"",@progbits
; Kernel info:
; codeLenInByte = 5392
; NumSgprs: 51
; NumVgprs: 67
; NumAgprs: 0
; TotalNumVgprs: 67
; ScratchSize: 0
; MemoryBound: 0
; FloatMode: 240
; IeeeMode: 1
; LDSByteSize: 0 bytes/workgroup (compile time only)
; SGPRBlocks: 6
; VGPRBlocks: 8
; NumSGPRsForWavesPerEU: 51
; NumVGPRsForWavesPerEU: 67
; AccumOffset: 68
; Occupancy: 7
; WaveLimiterHint : 1
; COMPUTE_PGM_RSRC2:SCRATCH_EN: 0
; COMPUTE_PGM_RSRC2:USER_SGPR: 2
; COMPUTE_PGM_RSRC2:TRAP_HANDLER: 0
; COMPUTE_PGM_RSRC2:TGID_X_EN: 1
; COMPUTE_PGM_RSRC2:TGID_Y_EN: 0
; COMPUTE_PGM_RSRC2:TGID_Z_EN: 0
; COMPUTE_PGM_RSRC2:TIDIG_COMP_CNT: 0
; COMPUTE_PGM_RSRC3_GFX90A:ACCUM_OFFSET: 16
; COMPUTE_PGM_RSRC3_GFX90A:TG_SPLIT: 0
	.text
	.p2alignl 6, 3212836864
	.fill 256, 4, 3212836864
	.type	__hip_cuid_50760c8302465336,@object ; @__hip_cuid_50760c8302465336
	.section	.bss,"aw",@nobits
	.globl	__hip_cuid_50760c8302465336
__hip_cuid_50760c8302465336:
	.byte	0                               ; 0x0
	.size	__hip_cuid_50760c8302465336, 1

	.ident	"AMD clang version 19.0.0git (https://github.com/RadeonOpenCompute/llvm-project roc-6.4.0 25133 c7fe45cf4b819c5991fe208aaa96edf142730f1d)"
	.section	".note.GNU-stack","",@progbits
	.addrsig
	.addrsig_sym __hip_cuid_50760c8302465336
	.amdgpu_metadata
---
amdhsa.kernels:
  - .agpr_count:     0
    .args:
      - .actual_access:  read_only
        .address_space:  global
        .offset:         0
        .size:           8
        .value_kind:     global_buffer
      - .address_space:  global
        .offset:         8
        .size:           8
        .value_kind:     global_buffer
      - .offset:         16
        .size:           8
        .value_kind:     by_value
      - .actual_access:  read_only
        .address_space:  global
        .offset:         24
        .size:           8
        .value_kind:     global_buffer
      - .actual_access:  read_only
        .address_space:  global
        .offset:         32
        .size:           8
        .value_kind:     global_buffer
      - .offset:         40
        .size:           8
        .value_kind:     by_value
      - .actual_access:  read_only
        .address_space:  global
        .offset:         48
        .size:           8
        .value_kind:     global_buffer
      - .actual_access:  read_only
        .address_space:  global
        .offset:         56
        .size:           8
        .value_kind:     global_buffer
      - .offset:         64
        .size:           4
        .value_kind:     by_value
      - .actual_access:  read_only
        .address_space:  global
        .offset:         72
        .size:           8
        .value_kind:     global_buffer
      - .actual_access:  read_only
        .address_space:  global
        .offset:         80
        .size:           8
        .value_kind:     global_buffer
      - .address_space:  global
        .offset:         88
        .size:           8
        .value_kind:     global_buffer
    .group_segment_fixed_size: 0
    .kernarg_segment_align: 8
    .kernarg_segment_size: 96
    .language:       OpenCL C
    .language_version:
      - 2
      - 0
    .max_flat_workgroup_size: 324
    .name:           fft_rtc_fwd_len216_factors_6_6_6_wgs_324_tpt_36_dp_ip_CI_sbcc_twdbase8_2step
    .private_segment_fixed_size: 0
    .sgpr_count:     51
    .sgpr_spill_count: 0
    .symbol:         fft_rtc_fwd_len216_factors_6_6_6_wgs_324_tpt_36_dp_ip_CI_sbcc_twdbase8_2step.kd
    .uniform_work_group_size: 1
    .uses_dynamic_stack: false
    .vgpr_count:     67
    .vgpr_spill_count: 0
    .wavefront_size: 64
amdhsa.target:   amdgcn-amd-amdhsa--gfx950
amdhsa.version:
  - 1
  - 2
...

	.end_amdgpu_metadata
